;; amdgpu-corpus repo=ROCm/rocFFT kind=compiled arch=gfx1201 opt=O3
	.text
	.amdgcn_target "amdgcn-amd-amdhsa--gfx1201"
	.amdhsa_code_object_version 6
	.protected	fft_rtc_back_len256_factors_8_4_8_wgs_512_tpt_32_dim3_dp_ip_CI_sbcc_twdbase8_2step_dirReg ; -- Begin function fft_rtc_back_len256_factors_8_4_8_wgs_512_tpt_32_dim3_dp_ip_CI_sbcc_twdbase8_2step_dirReg
	.globl	fft_rtc_back_len256_factors_8_4_8_wgs_512_tpt_32_dim3_dp_ip_CI_sbcc_twdbase8_2step_dirReg
	.p2align	8
	.type	fft_rtc_back_len256_factors_8_4_8_wgs_512_tpt_32_dim3_dp_ip_CI_sbcc_twdbase8_2step_dirReg,@function
fft_rtc_back_len256_factors_8_4_8_wgs_512_tpt_32_dim3_dp_ip_CI_sbcc_twdbase8_2step_dirReg: ; @fft_rtc_back_len256_factors_8_4_8_wgs_512_tpt_32_dim3_dp_ip_CI_sbcc_twdbase8_2step_dirReg
; %bb.0:
	s_load_b128 s[8:11], s[0:1], 0x10
	s_mov_b32 s14, ttmp9
	s_mov_b32 s15, 0
	s_mov_b64 s[18:19], 0
	s_wait_kmcnt 0x0
	s_load_b64 s[12:13], s[8:9], 0x8
	s_wait_kmcnt 0x0
	s_add_nc_u64 s[2:3], s[12:13], -1
	s_delay_alu instid0(SALU_CYCLE_1) | instskip(NEXT) | instid1(SALU_CYCLE_1)
	s_lshr_b64 s[2:3], s[2:3], 4
	s_add_nc_u64 s[16:17], s[2:3], 1
	s_delay_alu instid0(SALU_CYCLE_1) | instskip(NEXT) | instid1(VALU_DEP_1)
	v_cmp_lt_u64_e64 s2, s[14:15], s[16:17]
	s_and_b32 vcc_lo, exec_lo, s2
	s_cbranch_vccnz .LBB0_2
; %bb.1:
	v_cvt_f32_u32_e32 v1, s16
	s_sub_co_i32 s3, 0, s16
	s_mov_b32 s19, s15
	s_delay_alu instid0(VALU_DEP_1) | instskip(NEXT) | instid1(TRANS32_DEP_1)
	v_rcp_iflag_f32_e32 v1, v1
	v_mul_f32_e32 v1, 0x4f7ffffe, v1
	s_delay_alu instid0(VALU_DEP_1) | instskip(NEXT) | instid1(VALU_DEP_1)
	v_cvt_u32_f32_e32 v1, v1
	v_readfirstlane_b32 s2, v1
	s_delay_alu instid0(VALU_DEP_1) | instskip(NEXT) | instid1(SALU_CYCLE_1)
	s_mul_i32 s3, s3, s2
	s_mul_hi_u32 s3, s2, s3
	s_delay_alu instid0(SALU_CYCLE_1) | instskip(NEXT) | instid1(SALU_CYCLE_1)
	s_add_co_i32 s2, s2, s3
	s_mul_hi_u32 s2, s14, s2
	s_delay_alu instid0(SALU_CYCLE_1) | instskip(SKIP_2) | instid1(SALU_CYCLE_1)
	s_mul_i32 s3, s2, s16
	s_add_co_i32 s4, s2, 1
	s_sub_co_i32 s3, s14, s3
	s_sub_co_i32 s5, s3, s16
	s_cmp_ge_u32 s3, s16
	s_cselect_b32 s2, s4, s2
	s_cselect_b32 s3, s5, s3
	s_add_co_i32 s4, s2, 1
	s_cmp_ge_u32 s3, s16
	s_cselect_b32 s18, s4, s2
.LBB0_2:
	s_load_b64 s[2:3], s[8:9], 0x10
	s_mov_b64 s[8:9], s[18:19]
	s_wait_kmcnt 0x0
	v_cmp_lt_u64_e64 s4, s[18:19], s[2:3]
	s_delay_alu instid0(VALU_DEP_1)
	s_and_b32 vcc_lo, exec_lo, s4
	s_cbranch_vccnz .LBB0_4
; %bb.3:
	v_cvt_f32_u32_e32 v1, s2
	s_sub_co_i32 s5, 0, s2
	s_mov_b32 s9, 0
	s_delay_alu instid0(VALU_DEP_1) | instskip(NEXT) | instid1(TRANS32_DEP_1)
	v_rcp_iflag_f32_e32 v1, v1
	v_mul_f32_e32 v1, 0x4f7ffffe, v1
	s_delay_alu instid0(VALU_DEP_1) | instskip(NEXT) | instid1(VALU_DEP_1)
	v_cvt_u32_f32_e32 v1, v1
	v_readfirstlane_b32 s4, v1
	s_delay_alu instid0(VALU_DEP_1) | instskip(NEXT) | instid1(SALU_CYCLE_1)
	s_mul_i32 s5, s5, s4
	s_mul_hi_u32 s5, s4, s5
	s_delay_alu instid0(SALU_CYCLE_1) | instskip(NEXT) | instid1(SALU_CYCLE_1)
	s_add_co_i32 s4, s4, s5
	s_mul_hi_u32 s4, s18, s4
	s_delay_alu instid0(SALU_CYCLE_1) | instskip(NEXT) | instid1(SALU_CYCLE_1)
	s_mul_i32 s4, s4, s2
	s_sub_co_i32 s4, s18, s4
	s_delay_alu instid0(SALU_CYCLE_1) | instskip(SKIP_2) | instid1(SALU_CYCLE_1)
	s_sub_co_i32 s5, s4, s2
	s_cmp_ge_u32 s4, s2
	s_cselect_b32 s4, s5, s4
	s_sub_co_i32 s5, s4, s2
	s_cmp_ge_u32 s4, s2
	s_cselect_b32 s8, s5, s4
.LBB0_4:
	s_clause 0x1
	s_load_b128 s[4:7], s[10:11], 0x0
	s_load_b64 s[20:21], s[10:11], 0x10
	s_mul_u64 s[2:3], s[2:3], s[16:17]
	s_mov_b64 s[22:23], 0
	s_wait_alu 0xfffe
	v_cmp_lt_u64_e64 s3, s[14:15], s[2:3]
	s_delay_alu instid0(VALU_DEP_1)
	s_and_b32 vcc_lo, exec_lo, s3
	s_cbranch_vccnz .LBB0_6
; %bb.5:
	v_cvt_f32_u32_e32 v1, s2
	s_sub_co_i32 s22, 0, s2
	s_delay_alu instid0(VALU_DEP_1) | instskip(NEXT) | instid1(TRANS32_DEP_1)
	v_rcp_iflag_f32_e32 v1, v1
	v_mul_f32_e32 v1, 0x4f7ffffe, v1
	s_delay_alu instid0(VALU_DEP_1) | instskip(NEXT) | instid1(VALU_DEP_1)
	v_cvt_u32_f32_e32 v1, v1
	v_readfirstlane_b32 s3, v1
	s_delay_alu instid0(VALU_DEP_1) | instskip(NEXT) | instid1(SALU_CYCLE_1)
	s_mul_i32 s22, s22, s3
	s_mul_hi_u32 s22, s3, s22
	s_delay_alu instid0(SALU_CYCLE_1)
	s_add_co_i32 s3, s3, s22
	s_wait_alu 0xfffe
	s_mul_hi_u32 s3, s14, s3
	s_wait_alu 0xfffe
	s_mul_i32 s22, s3, s2
	s_add_co_i32 s23, s3, 1
	s_sub_co_i32 s22, s14, s22
	s_delay_alu instid0(SALU_CYCLE_1)
	s_sub_co_i32 s24, s22, s2
	s_cmp_ge_u32 s22, s2
	s_cselect_b32 s3, s23, s3
	s_cselect_b32 s22, s24, s22
	s_wait_alu 0xfffe
	s_add_co_i32 s24, s3, 1
	s_cmp_ge_u32 s22, s2
	s_mov_b32 s23, 0
	s_cselect_b32 s22, s24, s3
.LBB0_6:
	s_load_b64 s[24:25], s[10:11], 0x18
	s_clause 0x1
	s_load_b64 s[10:11], s[0:1], 0x0
	s_load_b64 s[2:3], s[0:1], 0x50
	s_mul_u64 s[16:17], s[18:19], s[16:17]
	s_wait_kmcnt 0x0
	s_mul_u64 s[8:9], s[20:21], s[8:9]
	s_wait_alu 0xfffe
	s_sub_nc_u64 s[14:15], s[14:15], s[16:17]
	v_lshrrev_b32_e32 v36, 4, v0
	s_wait_alu 0xfffe
	s_lshl_b64 s[14:15], s[14:15], 4
	s_wait_alu 0xfffe
	v_dual_mov_b32 v34, s15 :: v_dual_and_b32 v35, 15, v0
	s_add_nc_u64 s[16:17], s[14:15], 16
	s_mul_u64 s[18:19], s[6:7], s[14:15]
	s_wait_alu 0xfffe
	v_cmp_gt_u64_e64 s20, s[16:17], s[12:13]
	s_add_nc_u64 s[8:9], s[8:9], s[18:19]
	v_cmp_le_u64_e64 s18, s[16:17], s[12:13]
	v_or_b32_e32 v33, s14, v35
	s_delay_alu instid0(VALU_DEP_3)
	s_and_b32 vcc_lo, exec_lo, s20
	s_mul_u64 s[14:15], s[24:25], s[22:23]
	s_wait_alu 0xfffe
	s_add_nc_u64 s[8:9], s[14:15], s[8:9]
	s_cbranch_vccz .LBB0_12
; %bb.7:
	s_mov_b32 s14, exec_lo
                                        ; implicit-def: $vgpr41
	v_cmpx_le_u64_e64 s[12:13], v[33:34]
	s_wait_alu 0xfffe
	s_xor_b32 s14, exec_lo, s14
; %bb.8:
	v_or_b32_e32 v41, 32, v36
; %bb.9:
	s_wait_alu 0xfffe
	s_or_saveexec_b32 s14, s14
                                        ; implicit-def: $vgpr1_vgpr2
                                        ; implicit-def: $vgpr17_vgpr18
                                        ; implicit-def: $vgpr25_vgpr26
                                        ; implicit-def: $vgpr21_vgpr22
                                        ; implicit-def: $vgpr29_vgpr30
                                        ; implicit-def: $vgpr9_vgpr10
                                        ; implicit-def: $vgpr13_vgpr14
                                        ; implicit-def: $vgpr5_vgpr6
	s_wait_alu 0xfffe
	s_xor_b32 exec_lo, exec_lo, s14
	s_cbranch_execz .LBB0_11
; %bb.10:
	v_mad_co_u64_u32 v[1:2], null, s6, v35, 0
	v_mad_co_u64_u32 v[3:4], null, s4, v36, 0
	v_or_b32_e32 v41, 32, v36
	v_or_b32_e32 v13, 64, v36
	s_lshl_b64 s[16:17], s[8:9], 4
	v_or_b32_e32 v18, 0x80, v36
	s_wait_alu 0xfffe
	s_add_nc_u64 s[16:17], s[2:3], s[16:17]
	v_mad_co_u64_u32 v[5:6], null, s4, v41, 0
	v_mad_co_u64_u32 v[7:8], null, s7, v35, v[2:3]
	v_or_b32_e32 v20, 0xa0, v36
	v_or_b32_e32 v23, 0xc0, v36
	;; [unrolled: 1-line block ×3, first 2 shown]
	v_mad_co_u64_u32 v[8:9], null, s5, v36, v[4:5]
	v_mad_co_u64_u32 v[9:10], null, s4, v13, 0
	v_mov_b32_e32 v4, v6
	v_mov_b32_e32 v2, v7
	s_delay_alu instid0(VALU_DEP_2) | instskip(SKIP_1) | instid1(VALU_DEP_3)
	v_mad_co_u64_u32 v[6:7], null, s5, v41, v[4:5]
	v_mov_b32_e32 v4, v8
	v_lshlrev_b64_e32 v[1:2], 4, v[1:2]
	v_or_b32_e32 v8, 0x60, v36
	v_mov_b32_e32 v7, v10
	s_delay_alu instid0(VALU_DEP_4) | instskip(SKIP_1) | instid1(VALU_DEP_4)
	v_lshlrev_b64_e32 v[3:4], 4, v[3:4]
	s_wait_alu 0xfffe
	v_add_co_u32 v25, vcc_lo, s16, v1
	v_mad_co_u64_u32 v[11:12], null, s4, v8, 0
	v_add_co_ci_u32_e32 v26, vcc_lo, s17, v2, vcc_lo
	v_lshlrev_b64_e32 v[1:2], 4, v[5:6]
	s_delay_alu instid0(VALU_DEP_4) | instskip(SKIP_1) | instid1(VALU_DEP_3)
	v_add_co_u32 v3, vcc_lo, v25, v3
	s_wait_alu 0xfffd
	v_add_co_ci_u32_e32 v4, vcc_lo, v26, v4, vcc_lo
	v_mad_co_u64_u32 v[5:6], null, s5, v13, v[7:8]
	s_delay_alu instid0(VALU_DEP_4) | instskip(SKIP_4) | instid1(VALU_DEP_3)
	v_add_co_u32 v6, vcc_lo, v25, v1
	v_mov_b32_e32 v1, v12
	v_mad_co_u64_u32 v[13:14], null, s4, v18, 0
	s_wait_alu 0xfffd
	v_add_co_ci_u32_e32 v7, vcc_lo, v26, v2, vcc_lo
	v_mad_co_u64_u32 v[15:16], null, s5, v8, v[1:2]
	v_mad_co_u64_u32 v[16:17], null, s4, v20, 0
	s_delay_alu instid0(VALU_DEP_2) | instskip(SKIP_1) | instid1(VALU_DEP_3)
	v_mov_b32_e32 v12, v15
	v_mad_co_u64_u32 v[14:15], null, s5, v18, v[14:15]
	v_mov_b32_e32 v15, v17
	v_mad_co_u64_u32 v[18:19], null, s4, v23, 0
	v_mov_b32_e32 v10, v5
	s_clause 0x1
	global_load_b128 v[1:4], v[3:4], off
	global_load_b128 v[5:8], v[6:7], off
	v_mad_co_u64_u32 v[20:21], null, s5, v20, v[15:16]
	v_mad_co_u64_u32 v[21:22], null, s4, v24, 0
	v_mov_b32_e32 v15, v19
	v_lshlrev_b64_e32 v[9:10], 4, v[9:10]
	v_lshlrev_b64_e32 v[13:14], 4, v[13:14]
	v_mov_b32_e32 v17, v20
	v_lshlrev_b64_e32 v[11:12], 4, v[11:12]
	v_mad_co_u64_u32 v[19:20], null, s5, v23, v[15:16]
	v_mov_b32_e32 v15, v22
	v_add_co_u32 v9, vcc_lo, v25, v9
	s_wait_alu 0xfffd
	v_add_co_ci_u32_e32 v10, vcc_lo, v26, v10, vcc_lo
	v_add_co_u32 v11, vcc_lo, v25, v11
	v_mad_co_u64_u32 v[22:23], null, s5, v24, v[15:16]
	v_lshlrev_b64_e32 v[15:16], 4, v[16:17]
	s_wait_alu 0xfffd
	v_add_co_ci_u32_e32 v12, vcc_lo, v26, v12, vcc_lo
	v_add_co_u32 v23, vcc_lo, v25, v13
	s_wait_alu 0xfffd
	v_add_co_ci_u32_e32 v24, vcc_lo, v26, v14, vcc_lo
	v_lshlrev_b64_e32 v[13:14], 4, v[18:19]
	v_add_co_u32 v17, vcc_lo, v25, v15
	s_wait_alu 0xfffd
	v_add_co_ci_u32_e32 v18, vcc_lo, v26, v16, vcc_lo
	v_lshlrev_b64_e32 v[15:16], 4, v[21:22]
	s_delay_alu instid0(VALU_DEP_4) | instskip(SKIP_2) | instid1(VALU_DEP_3)
	v_add_co_u32 v19, vcc_lo, v25, v13
	s_wait_alu 0xfffd
	v_add_co_ci_u32_e32 v20, vcc_lo, v26, v14, vcc_lo
	v_add_co_u32 v37, vcc_lo, v25, v15
	s_wait_alu 0xfffd
	v_add_co_ci_u32_e32 v38, vcc_lo, v26, v16, vcc_lo
	s_clause 0x5
	global_load_b128 v[13:16], v[9:10], off
	global_load_b128 v[9:12], v[11:12], off
	;; [unrolled: 1-line block ×6, first 2 shown]
.LBB0_11:
	s_or_b32 exec_lo, exec_lo, s14
	s_mov_b32 s14, 0
	s_branch .LBB0_13
.LBB0_12:
	s_mov_b32 s14, -1
                                        ; implicit-def: $vgpr1_vgpr2
                                        ; implicit-def: $vgpr17_vgpr18
                                        ; implicit-def: $vgpr25_vgpr26
                                        ; implicit-def: $vgpr21_vgpr22
                                        ; implicit-def: $vgpr29_vgpr30
                                        ; implicit-def: $vgpr9_vgpr10
                                        ; implicit-def: $vgpr13_vgpr14
                                        ; implicit-def: $vgpr5_vgpr6
                                        ; implicit-def: $vgpr41
.LBB0_13:
	v_or_b32_e32 v40, 32, v36
	v_or_b32_e32 v38, 0x60, v36
	;; [unrolled: 1-line block ×4, first 2 shown]
	s_wait_alu 0xfffe
	s_and_not1_b32 vcc_lo, exec_lo, s14
	s_wait_alu 0xfffe
	s_cbranch_vccnz .LBB0_15
; %bb.14:
	s_wait_loadcnt 0x7
	v_mad_co_u64_u32 v[1:2], null, s6, v35, 0
	v_mad_co_u64_u32 v[3:4], null, s4, v36, 0
	s_wait_loadcnt 0x6
	v_mad_co_u64_u32 v[5:6], null, s4, v40, 0
	s_wait_loadcnt 0x5
	v_or_b32_e32 v15, 64, v36
	s_lshl_b64 s[14:15], s[8:9], 4
	s_wait_loadcnt 0x0
	v_or_b32_e32 v17, 0x80, v36
	s_wait_alu 0xfffe
	s_add_nc_u64 s[14:15], s[2:3], s[14:15]
	v_mad_co_u64_u32 v[7:8], null, s7, v35, v[2:3]
	v_mov_b32_e32 v2, v6
	v_mad_co_u64_u32 v[9:10], null, s4, v15, 0
	v_mad_co_u64_u32 v[11:12], null, s5, v36, v[4:5]
	s_delay_alu instid0(VALU_DEP_3) | instskip(SKIP_4) | instid1(VALU_DEP_4)
	v_mad_co_u64_u32 v[12:13], null, s5, v40, v[2:3]
	v_mov_b32_e32 v2, v7
	v_mad_co_u64_u32 v[13:14], null, s4, v38, 0
	v_mov_b32_e32 v6, v10
	v_mov_b32_e32 v4, v11
	v_lshlrev_b64_e32 v[1:2], 4, v[1:2]
	v_or_b32_e32 v23, 0xc0, v36
	s_delay_alu instid0(VALU_DEP_4)
	v_mad_co_u64_u32 v[7:8], null, s5, v15, v[6:7]
	v_mov_b32_e32 v6, v12
	v_lshlrev_b64_e32 v[3:4], 4, v[3:4]
	s_wait_alu 0xfffe
	v_add_co_u32 v27, vcc_lo, s14, v1
	s_wait_alu 0xfffd
	v_add_co_ci_u32_e32 v28, vcc_lo, s15, v2, vcc_lo
	v_lshlrev_b64_e32 v[1:2], 4, v[5:6]
	s_delay_alu instid0(VALU_DEP_3) | instskip(SKIP_3) | instid1(VALU_DEP_4)
	v_add_co_u32 v3, vcc_lo, v27, v3
	v_mad_co_u64_u32 v[11:12], null, s4, v17, 0
	s_wait_alu 0xfffd
	v_add_co_ci_u32_e32 v4, vcc_lo, v28, v4, vcc_lo
	v_add_co_u32 v5, vcc_lo, v27, v1
	v_dual_mov_b32 v1, v14 :: v_dual_mov_b32 v10, v7
	s_delay_alu instid0(VALU_DEP_4) | instskip(SKIP_1) | instid1(VALU_DEP_3)
	v_mad_co_u64_u32 v[17:18], null, s5, v17, v[12:13]
	v_mad_co_u64_u32 v[18:19], null, s4, v23, 0
	;; [unrolled: 1-line block ×4, first 2 shown]
	v_lshlrev_b64_e32 v[9:10], 4, v[9:10]
	s_wait_alu 0xfffd
	v_add_co_ci_u32_e32 v6, vcc_lo, v28, v2, vcc_lo
	v_mov_b32_e32 v12, v17
	v_lshlrev_b64_e32 v[13:14], 4, v[13:14]
	s_clause 0x1
	global_load_b128 v[1:4], v[3:4], off
	global_load_b128 v[5:8], v[5:6], off
	v_mad_co_u64_u32 v[20:21], null, s5, v39, v[16:17]
	v_mad_co_u64_u32 v[21:22], null, s4, v37, 0
	v_add_co_u32 v9, vcc_lo, v27, v9
	s_wait_alu 0xfffd
	v_add_co_ci_u32_e32 v10, vcc_lo, v28, v10, vcc_lo
	s_delay_alu instid0(VALU_DEP_4)
	v_mov_b32_e32 v16, v20
	v_mad_co_u64_u32 v[19:20], null, s5, v23, v[19:20]
	v_mov_b32_e32 v17, v22
	v_add_co_u32 v23, vcc_lo, v27, v13
	s_wait_alu 0xfffd
	v_add_co_ci_u32_e32 v24, vcc_lo, v28, v14, vcc_lo
	s_delay_alu instid0(VALU_DEP_3) | instskip(SKIP_2) | instid1(VALU_DEP_2)
	v_mad_co_u64_u32 v[13:14], null, s5, v37, v[17:18]
	v_lshlrev_b64_e32 v[11:12], 4, v[11:12]
	v_lshlrev_b64_e32 v[14:15], 4, v[15:16]
	v_add_co_u32 v25, vcc_lo, v27, v11
	s_delay_alu instid0(VALU_DEP_4) | instskip(SKIP_1) | instid1(VALU_DEP_4)
	v_mov_b32_e32 v22, v13
	s_wait_alu 0xfffd
	v_add_co_ci_u32_e32 v26, vcc_lo, v28, v12, vcc_lo
	v_lshlrev_b64_e32 v[11:12], 4, v[18:19]
	v_add_co_u32 v17, vcc_lo, v27, v14
	v_lshlrev_b64_e32 v[13:14], 4, v[21:22]
	s_wait_alu 0xfffd
	v_add_co_ci_u32_e32 v18, vcc_lo, v28, v15, vcc_lo
	s_delay_alu instid0(VALU_DEP_4)
	v_add_co_u32 v19, vcc_lo, v27, v11
	s_wait_alu 0xfffd
	v_add_co_ci_u32_e32 v20, vcc_lo, v28, v12, vcc_lo
	v_add_co_u32 v41, vcc_lo, v27, v13
	s_wait_alu 0xfffd
	v_add_co_ci_u32_e32 v42, vcc_lo, v28, v14, vcc_lo
	s_clause 0x5
	global_load_b128 v[13:16], v[9:10], off
	global_load_b128 v[9:12], v[23:24], off
	;; [unrolled: 1-line block ×6, first 2 shown]
	v_mov_b32_e32 v41, v40
.LBB0_15:
	s_wait_loadcnt 0x3
	v_add_f64_e64 v[29:30], v[1:2], -v[29:30]
	v_add_f64_e64 v[31:32], v[3:4], -v[31:32]
	s_wait_loadcnt 0x1
	v_add_f64_e64 v[25:26], v[13:14], -v[25:26]
	v_add_f64_e64 v[27:28], v[15:16], -v[27:28]
	;; [unrolled: 1-line block ×4, first 2 shown]
	s_wait_loadcnt 0x0
	v_add_f64_e64 v[17:18], v[9:10], -v[17:18]
	v_add_f64_e64 v[19:20], v[11:12], -v[19:20]
	s_mov_b32 s14, 0x667f3bcd
	s_mov_b32 s15, 0xbfe6a09e
	;; [unrolled: 1-line block ×3, first 2 shown]
	s_wait_alu 0xfffe
	s_mov_b32 s16, s14
	v_bfe_u32 v64, v0, 4, 3
	v_lshlrev_b32_e32 v65, 4, v35
	v_cmp_gt_u64_e32 vcc_lo, s[12:13], v[33:34]
	s_delay_alu instid0(VALU_DEP_3) | instskip(SKIP_1) | instid1(VALU_DEP_1)
	v_mul_u32_u24_e32 v0, 3, v64
	s_or_b32 s12, s18, vcc_lo
	v_lshlrev_b32_e32 v0, 4, v0
	v_fma_f64 v[1:2], v[1:2], 2.0, -v[29:30]
	v_fma_f64 v[3:4], v[3:4], 2.0, -v[31:32]
	;; [unrolled: 1-line block ×8, first 2 shown]
	v_add_f64_e32 v[27:28], v[27:28], v[29:30]
	v_add_f64_e64 v[25:26], v[31:32], -v[25:26]
	v_add_f64_e32 v[19:20], v[21:22], v[19:20]
	v_add_f64_e64 v[17:18], v[23:24], -v[17:18]
	v_add_f64_e64 v[42:43], v[1:2], -v[13:14]
	;; [unrolled: 1-line block ×5, first 2 shown]
	v_fma_f64 v[29:30], v[29:30], 2.0, -v[27:28]
	v_fma_f64 v[31:32], v[31:32], 2.0, -v[25:26]
	;; [unrolled: 1-line block ×4, first 2 shown]
	s_wait_alu 0xfffe
	v_fma_f64 v[21:22], v[19:20], s[16:17], v[27:28]
	v_fma_f64 v[23:24], v[17:18], s[16:17], v[25:26]
	v_fma_f64 v[46:47], v[1:2], 2.0, -v[42:43]
	v_fma_f64 v[48:49], v[3:4], 2.0, -v[44:45]
	;; [unrolled: 1-line block ×4, first 2 shown]
	v_add_f64_e32 v[1:2], v[11:12], v[42:43]
	v_add_f64_e64 v[3:4], v[44:45], -v[9:10]
	v_fma_f64 v[54:55], v[15:16], s[14:15], v[29:30]
	v_fma_f64 v[56:57], v[13:14], s[14:15], v[31:32]
	;; [unrolled: 1-line block ×4, first 2 shown]
	v_add_f64_e64 v[9:10], v[46:47], -v[50:51]
	v_add_f64_e64 v[11:12], v[48:49], -v[52:53]
	v_fma_f64 v[17:18], v[42:43], 2.0, -v[1:2]
	v_fma_f64 v[19:20], v[44:45], 2.0, -v[3:4]
	v_fma_f64 v[13:14], v[13:14], s[16:17], v[54:55]
	v_fma_f64 v[15:16], v[15:16], s[14:15], v[56:57]
	v_fma_f64 v[21:22], v[27:28], 2.0, -v[5:6]
	v_fma_f64 v[23:24], v[25:26], 2.0, -v[7:8]
	v_lshlrev_b32_e32 v42, 11, v36
	s_delay_alu instid0(VALU_DEP_1)
	v_add3_u32 v42, 0, v42, v65
	v_fma_f64 v[25:26], v[46:47], 2.0, -v[9:10]
	v_fma_f64 v[27:28], v[48:49], 2.0, -v[11:12]
	;; [unrolled: 1-line block ×4, first 2 shown]
	ds_store_b128 v42, v[1:4] offset:1536
	ds_store_b128 v42, v[5:8] offset:1792
	;; [unrolled: 1-line block ×6, first 2 shown]
	ds_store_b128 v42, v[25:28]
	ds_store_b128 v42, v[29:32] offset:256
	global_wb scope:SCOPE_SE
	s_wait_dscnt 0x0
	s_barrier_signal -1
	s_barrier_wait -1
	global_inv scope:SCOPE_SE
	s_clause 0x2
	global_load_b128 v[1:4], v0, s[10:11]
	global_load_b128 v[5:8], v0, s[10:11] offset:16
	global_load_b128 v[9:12], v0, s[10:11] offset:32
	v_mad_i32_i24 v0, 0xfffff900, v36, v42
	ds_load_b128 v[13:16], v0 offset:16384
	ds_load_b128 v[17:20], v0 offset:32768
	;; [unrolled: 1-line block ×6, first 2 shown]
	s_wait_loadcnt_dscnt 0x205
	v_mul_f64_e32 v[46:47], v[15:16], v[3:4]
	v_mul_f64_e32 v[48:49], v[13:14], v[3:4]
	s_wait_loadcnt_dscnt 0x104
	v_mul_f64_e32 v[50:51], v[19:20], v[7:8]
	v_mul_f64_e32 v[52:53], v[17:18], v[7:8]
	;; [unrolled: 3-line block ×3, first 2 shown]
	s_wait_dscnt 0x2
	v_mul_f64_e32 v[58:59], v[27:28], v[3:4]
	v_mul_f64_e32 v[3:4], v[25:26], v[3:4]
	s_wait_dscnt 0x1
	v_mul_f64_e32 v[60:61], v[31:32], v[7:8]
	v_mul_f64_e32 v[7:8], v[29:30], v[7:8]
	;; [unrolled: 3-line block ×3, first 2 shown]
	v_fma_f64 v[13:14], v[13:14], v[1:2], v[46:47]
	v_fma_f64 v[15:16], v[15:16], v[1:2], -v[48:49]
	v_fma_f64 v[17:18], v[17:18], v[5:6], v[50:51]
	v_fma_f64 v[19:20], v[19:20], v[5:6], -v[52:53]
	;; [unrolled: 2-line block ×6, first 2 shown]
	v_lshlrev_b32_e32 v1, 8, v41
	s_delay_alu instid0(VALU_DEP_1)
	v_add3_u32 v1, 0, v1, v65
	ds_load_b128 v[2:5], v0
	ds_load_b128 v[6:9], v1
	global_wb scope:SCOPE_SE
	s_wait_dscnt 0x0
	s_barrier_signal -1
	s_barrier_wait -1
	global_inv scope:SCOPE_SE
	v_add_f64_e64 v[44:45], v[2:3], -v[17:18]
	v_add_f64_e64 v[46:47], v[4:5], -v[19:20]
	v_add_f64_e64 v[17:18], v[13:14], -v[21:22]
	v_add_f64_e64 v[19:20], v[15:16], -v[23:24]
	v_add_f64_e64 v[22:23], v[6:7], -v[29:30]
	v_add_f64_e64 v[30:31], v[8:9], -v[31:32]
	v_add_f64_e64 v[42:43], v[25:26], -v[42:43]
	v_add_f64_e64 v[10:11], v[27:28], -v[10:11]
	v_fma_f64 v[48:49], v[2:3], 2.0, -v[44:45]
	v_fma_f64 v[50:51], v[4:5], 2.0, -v[46:47]
	;; [unrolled: 1-line block ×4, first 2 shown]
	v_add_f64_e32 v[2:3], v[44:45], v[19:20]
	v_add_f64_e64 v[4:5], v[46:47], -v[17:18]
	v_fma_f64 v[52:53], v[6:7], 2.0, -v[22:23]
	v_fma_f64 v[54:55], v[8:9], 2.0, -v[30:31]
	;; [unrolled: 1-line block ×4, first 2 shown]
	v_add_f64_e32 v[6:7], v[22:23], v[10:11]
	v_add_f64_e64 v[10:11], v[48:49], -v[12:13]
	v_add_f64_e64 v[12:13], v[50:51], -v[14:15]
	v_fma_f64 v[18:19], v[44:45], 2.0, -v[2:3]
	v_fma_f64 v[20:21], v[46:47], 2.0, -v[4:5]
	v_add_f64_e64 v[14:15], v[52:53], -v[8:9]
	v_add_f64_e64 v[16:17], v[54:55], -v[24:25]
	;; [unrolled: 1-line block ×3, first 2 shown]
	v_fma_f64 v[22:23], v[22:23], 2.0, -v[6:7]
	v_fma_f64 v[26:27], v[48:49], 2.0, -v[10:11]
	;; [unrolled: 1-line block ×6, first 2 shown]
	v_lshlrev_b32_e32 v30, 2, v36
	v_lshlrev_b32_e32 v31, 2, v41
	s_delay_alu instid0(VALU_DEP_2) | instskip(NEXT) | instid1(VALU_DEP_2)
	v_and_or_b32 v30, 0x60, v30, v64
	v_and_or_b32 v31, 0x1e0, v31, v64
	s_delay_alu instid0(VALU_DEP_2) | instskip(NEXT) | instid1(VALU_DEP_2)
	v_lshlrev_b32_e32 v30, 8, v30
	v_lshlrev_b32_e32 v31, 8, v31
	s_delay_alu instid0(VALU_DEP_2) | instskip(NEXT) | instid1(VALU_DEP_2)
	v_add3_u32 v30, 0, v30, v65
	v_add3_u32 v31, 0, v31, v65
	ds_store_b128 v30, v[10:13] offset:4096
	ds_store_b128 v30, v[2:5] offset:6144
	ds_store_b128 v30, v[26:29]
	ds_store_b128 v30, v[18:21] offset:2048
	ds_store_b128 v31, v[42:45]
	ds_store_b128 v31, v[22:25] offset:2048
	ds_store_b128 v31, v[14:17] offset:4096
	;; [unrolled: 1-line block ×3, first 2 shown]
	global_wb scope:SCOPE_SE
	s_wait_dscnt 0x0
	s_barrier_signal -1
	s_barrier_wait -1
	global_inv scope:SCOPE_SE
	s_and_saveexec_b32 s13, s12
	s_cbranch_execz .LBB0_17
; %bb.16:
	v_mul_u32_u24_e32 v2, 7, v36
	s_load_b64 s[0:1], s[0:1], 0x8
	v_mul_lo_u32 v30, v33, v37
	v_mad_co_u64_u32 v[93:94], null, s4, v37, 0
	s_delay_alu instid0(VALU_DEP_3)
	v_lshlrev_b32_e32 v26, 4, v2
	v_mul_lo_u32 v31, v33, v39
	v_or_b32_e32 v98, 0x80, v36
	v_or_b32_e32 v97, 0xc0, v36
	v_or_b32_e32 v99, 64, v36
	s_clause 0x5
	global_load_b128 v[2:5], v26, s[10:11] offset:384
	global_load_b128 v[6:9], v26, s[10:11] offset:448
	;; [unrolled: 1-line block ×6, first 2 shown]
	v_and_b32_e32 v32, 0xff, v30
	v_lshrrev_b32_e32 v30, 4, v30
	global_load_b128 v[26:29], v26, s[10:11] offset:464
	v_mad_co_u64_u32 v[95:96], null, s4, v98, 0
	v_lshlrev_b32_e32 v32, 4, v32
	v_and_b32_e32 v30, 0xff0, v30
	v_and_b32_e32 v34, 0xff, v31
	s_wait_kmcnt 0x0
	s_clause 0x1
	global_load_b128 v[41:44], v32, s[0:1]
	global_load_b128 v[45:48], v30, s[0:1] offset:4096
	v_lshrrev_b32_e32 v30, 4, v31
	v_lshlrev_b32_e32 v31, 4, v34
	v_mul_lo_u32 v34, v33, v98
	s_delay_alu instid0(VALU_DEP_3)
	v_and_b32_e32 v30, 0xff0, v30
	s_clause 0x1
	global_load_b128 v[49:52], v31, s[0:1]
	global_load_b128 v[53:56], v30, s[0:1] offset:4096
	ds_load_b128 v[57:60], v1
	ds_load_b128 v[61:64], v0 offset:40960
	ds_load_b128 v[65:68], v0 offset:24576
	;; [unrolled: 1-line block ×4, first 2 shown]
	v_mul_lo_u32 v1, v33, v38
	v_and_b32_e32 v91, 0xff, v34
	ds_load_b128 v[77:80], v0 offset:16384
	v_lshrrev_b32_e32 v34, 4, v34
	v_and_b32_e32 v32, 0xff, v1
	v_lshrrev_b32_e32 v1, 4, v1
	s_delay_alu instid0(VALU_DEP_3)
	v_and_b32_e32 v34, 0xff0, v34
	s_wait_loadcnt_dscnt 0xa05
	v_mul_f64_e32 v[30:31], v[57:58], v[4:5]
	v_mul_f64_e32 v[4:5], v[59:60], v[4:5]
	s_wait_loadcnt_dscnt 0x803
	v_mul_f64_e32 v[83:84], v[67:68], v[12:13]
	v_mul_f64_e32 v[12:13], v[65:66], v[12:13]
	;; [unrolled: 1-line block ×4, first 2 shown]
	s_wait_loadcnt_dscnt 0x601
	v_mul_f64_e32 v[85:86], v[73:74], v[20:21]
	v_mul_f64_e32 v[20:21], v[75:76], v[20:21]
	v_fma_f64 v[59:60], v[59:60], v[2:3], -v[30:31]
	v_mul_f64_e32 v[30:31], v[71:72], v[16:17]
	v_fma_f64 v[65:66], v[65:66], v[10:11], v[83:84]
	s_wait_loadcnt 0x2
	v_mul_f64_e32 v[83:84], v[43:44], v[47:48]
	v_fma_f64 v[57:58], v[57:58], v[2:3], v[4:5]
	v_mul_f64_e32 v[16:17], v[69:70], v[16:17]
	v_lshlrev_b32_e32 v2, 4, v32
	v_mul_f64_e32 v[47:48], v[41:42], v[47:48]
	v_fma_f64 v[63:64], v[63:64], v[6:7], -v[81:82]
	v_fma_f64 v[61:62], v[61:62], v[6:7], v[8:9]
	v_fma_f64 v[67:68], v[67:68], v[10:11], -v[12:13]
	s_wait_dscnt 0x0
	v_mul_f64_e32 v[81:82], v[79:80], v[24:25]
	v_mul_f64_e32 v[24:25], v[77:78], v[24:25]
	v_mul_lo_u32 v13, v33, v40
	v_fma_f64 v[75:76], v[75:76], v[18:19], -v[85:86]
	v_fma_f64 v[73:74], v[73:74], v[18:19], v[20:21]
	v_mul_lo_u32 v21, v33, v36
	s_delay_alu instid0(VALU_DEP_4)
	v_and_b32_e32 v32, 0xff, v13
	v_lshrrev_b32_e32 v13, 4, v13
	v_fma_f64 v[69:70], v[69:70], v[14:15], v[30:31]
	v_fma_f64 v[83:84], v[41:42], v[45:46], -v[83:84]
	v_lshlrev_b32_e32 v41, 4, v91
	v_mad_co_u64_u32 v[91:92], null, s4, v38, 0
	v_and_b32_e32 v5, 0xff0, v1
	s_clause 0x1
	global_load_b128 v[1:4], v2, s[0:1]
	global_load_b128 v[5:8], v5, s[0:1] offset:4096
	ds_load_b128 v[9:12], v0 offset:49152
	v_fma_f64 v[71:72], v[71:72], v[14:15], -v[16:17]
	v_lshlrev_b32_e32 v14, 4, v32
	v_and_b32_e32 v17, 0xff0, v13
	s_clause 0x1
	global_load_b128 v[13:16], v14, s[0:1]
	global_load_b128 v[17:20], v17, s[0:1] offset:4096
	v_fma_f64 v[77:78], v[77:78], v[22:23], v[81:82]
	v_fma_f64 v[79:80], v[79:80], v[22:23], -v[24:25]
	v_mul_lo_u32 v22, v33, v97
	v_and_b32_e32 v23, 0xff, v21
	v_lshrrev_b32_e32 v21, 4, v21
	v_fma_f64 v[89:90], v[43:44], v[45:46], v[47:48]
	s_wait_loadcnt 0x4
	v_mul_f64_e32 v[81:82], v[51:52], v[55:56]
	v_mul_f64_e32 v[55:56], v[49:50], v[55:56]
	v_lshlrev_b32_e32 v23, 4, v23
	v_and_b32_e32 v21, 0xff0, v21
	v_and_b32_e32 v25, 0xff, v22
	v_lshrrev_b32_e32 v32, 4, v22
	s_wait_dscnt 0x0
	v_mul_f64_e32 v[30:31], v[11:12], v[28:29]
	v_mul_f64_e32 v[28:29], v[9:10], v[28:29]
	v_add_f64_e64 v[63:64], v[59:60], -v[63:64]
	v_lshlrev_b32_e32 v25, 4, v25
	v_add_f64_e64 v[69:70], v[65:66], -v[69:70]
	v_fma_f64 v[49:50], v[49:50], v[53:54], -v[81:82]
	v_fma_f64 v[51:52], v[51:52], v[53:54], v[55:56]
	v_fma_f64 v[85:86], v[9:10], v[26:27], v[30:31]
	v_fma_f64 v[87:88], v[11:12], v[26:27], -v[28:29]
	s_clause 0x1
	global_load_b128 v[9:12], v23, s[0:1]
	global_load_b128 v[21:24], v21, s[0:1] offset:4096
	v_and_b32_e32 v29, 0xff0, v32
	s_clause 0x3
	global_load_b128 v[25:28], v25, s[0:1]
	global_load_b128 v[29:32], v29, s[0:1] offset:4096
	global_load_b128 v[41:44], v41, s[0:1]
	global_load_b128 v[45:48], v34, s[0:1] offset:4096
	v_fma_f64 v[65:66], v[65:66], 2.0, -v[69:70]
	v_add_f64_e64 v[69:70], v[63:64], -v[69:70]
	v_fma_f64 v[59:60], v[59:60], 2.0, -v[63:64]
	s_delay_alu instid0(VALU_DEP_2) | instskip(SKIP_3) | instid1(VALU_DEP_2)
	v_fma_f64 v[63:64], v[63:64], 2.0, -v[69:70]
	s_wait_loadcnt 0x8
	v_mul_f64_e32 v[53:54], v[3:4], v[7:8]
	v_mul_f64_e32 v[7:8], v[1:2], v[7:8]
	v_fma_f64 v[53:54], v[1:2], v[5:6], -v[53:54]
	s_wait_loadcnt 0x6
	v_mul_f64_e32 v[1:2], v[15:16], v[19:20]
	s_delay_alu instid0(VALU_DEP_3)
	v_fma_f64 v[55:56], v[3:4], v[5:6], v[7:8]
	v_mul_f64_e32 v[3:4], v[13:14], v[19:20]
	s_wait_loadcnt 0x4
	v_mul_f64_e32 v[5:6], v[11:12], v[23:24]
	v_mul_f64_e32 v[7:8], v[9:10], v[23:24]
	v_mad_co_u64_u32 v[23:24], null, s4, v36, 0
	v_fma_f64 v[81:82], v[13:14], v[17:18], -v[1:2]
	s_wait_loadcnt 0x2
	v_mul_f64_e32 v[1:2], v[27:28], v[31:32]
	v_fma_f64 v[13:14], v[15:16], v[17:18], v[3:4]
	v_mul_f64_e32 v[3:4], v[25:26], v[31:32]
	s_wait_loadcnt 0x0
	v_mul_f64_e32 v[15:16], v[43:44], v[47:48]
	v_mul_f64_e32 v[17:18], v[41:42], v[47:48]
	v_mad_co_u64_u32 v[31:32], null, s4, v40, 0
	v_fma_f64 v[47:48], v[9:10], v[21:22], -v[5:6]
	v_fma_f64 v[19:20], v[11:12], v[21:22], v[7:8]
	v_mad_co_u64_u32 v[21:22], null, s6, v35, 0
	v_mul_lo_u32 v8, v33, v99
	v_mad_co_u64_u32 v[33:34], null, s4, v99, 0
	v_fma_f64 v[25:26], v[25:26], v[29:30], -v[1:2]
	s_delay_alu instid0(VALU_DEP_4) | instskip(SKIP_3) | instid1(VALU_DEP_4)
	v_dual_mov_b32 v1, v22 :: v_dual_mov_b32 v2, v24
	v_fma_f64 v[27:28], v[27:28], v[29:30], v[3:4]
	v_mad_co_u64_u32 v[29:30], null, s4, v39, 0
	v_dual_mov_b32 v3, v32 :: v_dual_mov_b32 v4, v92
	v_mad_co_u64_u32 v[5:6], null, s7, v35, v[1:2]
	v_fma_f64 v[41:42], v[41:42], v[45:46], -v[15:16]
	s_delay_alu instid0(VALU_DEP_3) | instskip(NEXT) | instid1(VALU_DEP_4)
	v_mad_co_u64_u32 v[6:7], null, s5, v36, v[2:3]
	v_mad_co_u64_u32 v[2:3], null, s5, v40, v[3:4]
	v_mov_b32_e32 v1, v30
	v_mad_co_u64_u32 v[9:10], null, s5, v38, v[4:5]
	v_fma_f64 v[15:16], v[43:44], v[45:46], v[17:18]
	v_dual_mov_b32 v3, v94 :: v_dual_mov_b32 v22, v5
	s_delay_alu instid0(VALU_DEP_4) | instskip(SKIP_1) | instid1(VALU_DEP_3)
	v_mad_co_u64_u32 v[10:11], null, s5, v39, v[1:2]
	v_mov_b32_e32 v1, v34
	v_mad_co_u64_u32 v[11:12], null, s5, v37, v[3:4]
	v_lshrrev_b32_e32 v3, 4, v8
	v_mov_b32_e32 v24, v6
	s_delay_alu instid0(VALU_DEP_4) | instskip(SKIP_1) | instid1(VALU_DEP_4)
	v_mad_co_u64_u32 v[17:18], null, s5, v99, v[1:2]
	v_mov_b32_e32 v1, v96
	v_dual_mov_b32 v32, v2 :: v_dual_and_b32 v7, 0xff0, v3
	v_mov_b32_e32 v92, v9
	v_mov_b32_e32 v30, v10
	s_delay_alu instid0(VALU_DEP_4) | instskip(SKIP_4) | instid1(VALU_DEP_4)
	v_mad_co_u64_u32 v[35:36], null, s5, v98, v[1:2]
	v_dual_mov_b32 v34, v17 :: v_dual_and_b32 v1, 0xff, v8
	v_mad_co_u64_u32 v[36:37], null, s4, v97, 0
	v_mov_b32_e32 v94, v11
	v_add_f64_e64 v[45:46], v[77:78], -v[85:86]
	v_lshlrev_b32_e32 v1, 4, v1
	s_clause 0x1
	global_load_b128 v[1:4], v1, s[0:1]
	global_load_b128 v[5:8], v7, s[0:1] offset:4096
	v_mov_b32_e32 v9, v37
	v_add_f64_e64 v[17:18], v[57:58], -v[61:62]
	v_add_f64_e64 v[61:62], v[67:68], -v[71:72]
	;; [unrolled: 1-line block ×3, first 2 shown]
	v_lshlrev_b64_e32 v[21:22], 4, v[21:22]
	v_mad_co_u64_u32 v[37:38], null, s5, v97, v[9:10]
	ds_load_b128 v[9:12], v0
	s_lshl_b64 s[0:1], s[8:9], 4
	v_lshlrev_b64_e32 v[103:104], 4, v[31:32]
	s_add_nc_u64 s[0:1], s[2:3], s[0:1]
	v_lshlrev_b64_e32 v[105:106], 4, v[29:30]
	v_add_co_u32 v107, vcc_lo, s0, v21
	s_wait_alu 0xfffd
	v_add_co_ci_u32_e32 v108, vcc_lo, s1, v22, vcc_lo
	v_lshlrev_b64_e32 v[101:102], 4, v[23:24]
	v_lshlrev_b64_e32 v[32:33], 4, v[33:34]
	v_mov_b32_e32 v96, v35
	v_lshlrev_b64_e32 v[91:92], 4, v[91:92]
	v_lshlrev_b64_e32 v[36:37], 4, v[36:37]
	;; [unrolled: 1-line block ×3, first 2 shown]
	s_delay_alu instid0(VALU_DEP_4)
	v_lshlrev_b64_e32 v[34:35], 4, v[95:96]
	s_wait_dscnt 0x0
	v_add_f64_e64 v[38:39], v[11:12], -v[75:76]
	v_add_f64_e64 v[43:44], v[9:10], -v[73:74]
	v_fma_f64 v[57:58], v[57:58], 2.0, -v[17:18]
	v_add_f64_e32 v[75:76], v[17:18], v[61:62]
	v_fma_f64 v[61:62], v[67:68], 2.0, -v[61:62]
	v_add_f64_e64 v[73:74], v[38:39], -v[45:46]
	v_fma_f64 v[45:46], v[77:78], 2.0, -v[45:46]
	v_fma_f64 v[77:78], v[79:80], 2.0, -v[71:72]
	v_add_f64_e32 v[71:72], v[43:44], v[71:72]
	v_fma_f64 v[11:12], v[11:12], 2.0, -v[38:39]
	v_fma_f64 v[9:10], v[9:10], 2.0, -v[43:44]
	v_add_f64_e64 v[65:66], v[57:58], -v[65:66]
	v_fma_f64 v[17:18], v[17:18], 2.0, -v[75:76]
	v_add_f64_e64 v[61:62], v[59:60], -v[61:62]
	v_fma_f64 v[67:68], v[69:70], s[16:17], v[73:74]
	v_fma_f64 v[38:39], v[38:39], 2.0, -v[73:74]
	v_fma_f64 v[43:44], v[43:44], 2.0, -v[71:72]
	v_add_f64_e64 v[77:78], v[11:12], -v[77:78]
	v_add_f64_e64 v[45:46], v[9:10], -v[45:46]
	v_fma_f64 v[57:58], v[57:58], 2.0, -v[65:66]
	v_fma_f64 v[59:60], v[59:60], 2.0, -v[61:62]
	v_fma_f64 v[67:68], v[75:76], s[14:15], v[67:68]
	v_fma_f64 v[75:76], v[75:76], s[16:17], v[71:72]
	v_fma_f64 v[11:12], v[11:12], 2.0, -v[77:78]
	v_fma_f64 v[9:10], v[9:10], 2.0, -v[45:46]
	v_add_f64_e32 v[61:62], v[45:46], v[61:62]
	v_add_f64_e64 v[65:66], v[77:78], -v[65:66]
	v_mul_f64_e32 v[79:80], v[67:68], v[89:90]
	v_fma_f64 v[69:70], v[69:70], s[16:17], v[75:76]
	v_fma_f64 v[75:76], v[63:64], s[14:15], v[38:39]
	v_fma_f64 v[73:74], v[73:74], 2.0, -v[67:68]
	v_add_f64_e64 v[59:60], v[11:12], -v[59:60]
	v_add_f64_e64 v[57:58], v[9:10], -v[57:58]
	v_fma_f64 v[45:46], v[45:46], 2.0, -v[61:62]
	v_fma_f64 v[77:78], v[77:78], 2.0, -v[65:66]
	v_mul_f64_e32 v[21:22], v[69:70], v[89:90]
	v_fma_f64 v[75:76], v[17:18], s[14:15], v[75:76]
	v_fma_f64 v[17:18], v[17:18], s[14:15], v[43:44]
	v_fma_f64 v[87:88], v[11:12], 2.0, -v[59:60]
	v_fma_f64 v[85:86], v[9:10], 2.0, -v[57:58]
	;; [unrolled: 1-line block ×3, first 2 shown]
	v_mul_f64_e32 v[10:11], v[65:66], v[27:28]
	v_mul_f64_e32 v[99:100], v[59:60], v[15:16]
	v_fma_f64 v[38:39], v[38:39], 2.0, -v[75:76]
	v_fma_f64 v[63:64], v[63:64], s[16:17], v[17:18]
	v_mul_f64_e32 v[89:90], v[19:20], v[87:88]
	s_delay_alu instid0(VALU_DEP_2) | instskip(SKIP_3) | instid1(VALU_DEP_2)
	v_fma_f64 v[43:44], v[43:44], 2.0, -v[63:64]
	s_wait_loadcnt 0x0
	v_mul_f64_e32 v[17:18], v[1:2], v[7:8]
	v_mul_f64_e32 v[7:8], v[3:4], v[7:8]
	v_fma_f64 v[17:18], v[3:4], v[5:6], v[17:18]
	s_delay_alu instid0(VALU_DEP_2)
	v_fma_f64 v[8:9], v[1:2], v[5:6], -v[7:8]
	v_mul_f64_e32 v[4:5], v[61:62], v[27:28]
	v_fma_f64 v[2:3], v[67:68], v[83:84], -v[21:22]
	v_fma_f64 v[0:1], v[69:70], v[83:84], v[79:80]
	v_mul_f64_e32 v[27:28], v[57:58], v[15:16]
	v_mul_f64_e32 v[83:84], v[19:20], v[85:86]
	;; [unrolled: 1-line block ×10, first 2 shown]
	v_fma_f64 v[6:7], v[65:66], v[25:26], -v[4:5]
	v_fma_f64 v[4:5], v[61:62], v[25:26], v[10:11]
	v_fma_f64 v[14:15], v[59:60], v[41:42], -v[27:28]
	v_fma_f64 v[30:31], v[47:48], v[87:88], -v[83:84]
	v_fma_f64 v[28:29], v[47:48], v[85:86], v[89:90]
	v_fma_f64 v[26:27], v[38:39], v[81:82], -v[79:80]
	v_fma_f64 v[24:25], v[43:44], v[81:82], v[12:13]
	v_fma_f64 v[10:11], v[75:76], v[49:50], -v[21:22]
	v_fma_f64 v[18:19], v[73:74], v[53:54], -v[67:68]
	v_fma_f64 v[16:17], v[71:72], v[53:54], v[55:56]
	v_fma_f64 v[12:13], v[57:58], v[41:42], v[99:100]
	v_add_co_u32 v38, vcc_lo, v107, v101
	s_wait_alu 0xfffd
	v_add_co_ci_u32_e32 v39, vcc_lo, v108, v102, vcc_lo
	v_add_co_u32 v40, vcc_lo, v107, v103
	s_wait_alu 0xfffd
	v_add_co_ci_u32_e32 v41, vcc_lo, v108, v104, vcc_lo
	;; [unrolled: 3-line block ×5, first 2 shown]
	v_add_co_u32 v44, vcc_lo, v107, v105
	v_fma_f64 v[22:23], v[77:78], v[8:9], -v[69:70]
	v_fma_f64 v[20:21], v[45:46], v[8:9], v[97:98]
	v_fma_f64 v[8:9], v[63:64], v[49:50], v[51:52]
	s_wait_alu 0xfffd
	v_add_co_ci_u32_e32 v45, vcc_lo, v108, v106, vcc_lo
	v_add_co_u32 v36, vcc_lo, v107, v36
	s_wait_alu 0xfffd
	v_add_co_ci_u32_e32 v37, vcc_lo, v108, v37, vcc_lo
	v_add_co_u32 v46, vcc_lo, v107, v93
	s_wait_alu 0xfffd
	v_add_co_ci_u32_e32 v47, vcc_lo, v108, v94, vcc_lo
	s_clause 0x7
	global_store_b128 v[38:39], v[28:31], off
	global_store_b128 v[40:41], v[24:27], off
	;; [unrolled: 1-line block ×8, first 2 shown]
.LBB0_17:
	s_nop 0
	s_sendmsg sendmsg(MSG_DEALLOC_VGPRS)
	s_endpgm
	.section	.rodata,"a",@progbits
	.p2align	6, 0x0
	.amdhsa_kernel fft_rtc_back_len256_factors_8_4_8_wgs_512_tpt_32_dim3_dp_ip_CI_sbcc_twdbase8_2step_dirReg
		.amdhsa_group_segment_fixed_size 0
		.amdhsa_private_segment_fixed_size 0
		.amdhsa_kernarg_size 88
		.amdhsa_user_sgpr_count 2
		.amdhsa_user_sgpr_dispatch_ptr 0
		.amdhsa_user_sgpr_queue_ptr 0
		.amdhsa_user_sgpr_kernarg_segment_ptr 1
		.amdhsa_user_sgpr_dispatch_id 0
		.amdhsa_user_sgpr_private_segment_size 0
		.amdhsa_wavefront_size32 1
		.amdhsa_uses_dynamic_stack 0
		.amdhsa_enable_private_segment 0
		.amdhsa_system_sgpr_workgroup_id_x 1
		.amdhsa_system_sgpr_workgroup_id_y 0
		.amdhsa_system_sgpr_workgroup_id_z 0
		.amdhsa_system_sgpr_workgroup_info 0
		.amdhsa_system_vgpr_workitem_id 0
		.amdhsa_next_free_vgpr 109
		.amdhsa_next_free_sgpr 26
		.amdhsa_reserve_vcc 1
		.amdhsa_float_round_mode_32 0
		.amdhsa_float_round_mode_16_64 0
		.amdhsa_float_denorm_mode_32 3
		.amdhsa_float_denorm_mode_16_64 3
		.amdhsa_fp16_overflow 0
		.amdhsa_workgroup_processor_mode 1
		.amdhsa_memory_ordered 1
		.amdhsa_forward_progress 0
		.amdhsa_round_robin_scheduling 0
		.amdhsa_exception_fp_ieee_invalid_op 0
		.amdhsa_exception_fp_denorm_src 0
		.amdhsa_exception_fp_ieee_div_zero 0
		.amdhsa_exception_fp_ieee_overflow 0
		.amdhsa_exception_fp_ieee_underflow 0
		.amdhsa_exception_fp_ieee_inexact 0
		.amdhsa_exception_int_div_zero 0
	.end_amdhsa_kernel
	.text
.Lfunc_end0:
	.size	fft_rtc_back_len256_factors_8_4_8_wgs_512_tpt_32_dim3_dp_ip_CI_sbcc_twdbase8_2step_dirReg, .Lfunc_end0-fft_rtc_back_len256_factors_8_4_8_wgs_512_tpt_32_dim3_dp_ip_CI_sbcc_twdbase8_2step_dirReg
                                        ; -- End function
	.section	.AMDGPU.csdata,"",@progbits
; Kernel info:
; codeLenInByte = 5452
; NumSgprs: 28
; NumVgprs: 109
; ScratchSize: 0
; MemoryBound: 1
; FloatMode: 240
; IeeeMode: 1
; LDSByteSize: 0 bytes/workgroup (compile time only)
; SGPRBlocks: 3
; VGPRBlocks: 13
; NumSGPRsForWavesPerEU: 28
; NumVGPRsForWavesPerEU: 109
; Occupancy: 12
; WaveLimiterHint : 1
; COMPUTE_PGM_RSRC2:SCRATCH_EN: 0
; COMPUTE_PGM_RSRC2:USER_SGPR: 2
; COMPUTE_PGM_RSRC2:TRAP_HANDLER: 0
; COMPUTE_PGM_RSRC2:TGID_X_EN: 1
; COMPUTE_PGM_RSRC2:TGID_Y_EN: 0
; COMPUTE_PGM_RSRC2:TGID_Z_EN: 0
; COMPUTE_PGM_RSRC2:TIDIG_COMP_CNT: 0
	.text
	.p2alignl 7, 3214868480
	.fill 96, 4, 3214868480
	.type	__hip_cuid_51e4d073cddcf920,@object ; @__hip_cuid_51e4d073cddcf920
	.section	.bss,"aw",@nobits
	.globl	__hip_cuid_51e4d073cddcf920
__hip_cuid_51e4d073cddcf920:
	.byte	0                               ; 0x0
	.size	__hip_cuid_51e4d073cddcf920, 1

	.ident	"AMD clang version 19.0.0git (https://github.com/RadeonOpenCompute/llvm-project roc-6.4.0 25133 c7fe45cf4b819c5991fe208aaa96edf142730f1d)"
	.section	".note.GNU-stack","",@progbits
	.addrsig
	.addrsig_sym __hip_cuid_51e4d073cddcf920
	.amdgpu_metadata
---
amdhsa.kernels:
  - .args:
      - .actual_access:  read_only
        .address_space:  global
        .offset:         0
        .size:           8
        .value_kind:     global_buffer
      - .address_space:  global
        .offset:         8
        .size:           8
        .value_kind:     global_buffer
      - .actual_access:  read_only
        .address_space:  global
        .offset:         16
        .size:           8
        .value_kind:     global_buffer
      - .actual_access:  read_only
        .address_space:  global
        .offset:         24
        .size:           8
        .value_kind:     global_buffer
      - .offset:         32
        .size:           8
        .value_kind:     by_value
      - .actual_access:  read_only
        .address_space:  global
        .offset:         40
        .size:           8
        .value_kind:     global_buffer
      - .actual_access:  read_only
        .address_space:  global
        .offset:         48
        .size:           8
        .value_kind:     global_buffer
      - .offset:         56
        .size:           4
        .value_kind:     by_value
      - .actual_access:  read_only
        .address_space:  global
        .offset:         64
        .size:           8
        .value_kind:     global_buffer
      - .actual_access:  read_only
        .address_space:  global
        .offset:         72
        .size:           8
        .value_kind:     global_buffer
      - .address_space:  global
        .offset:         80
        .size:           8
        .value_kind:     global_buffer
    .group_segment_fixed_size: 0
    .kernarg_segment_align: 8
    .kernarg_segment_size: 88
    .language:       OpenCL C
    .language_version:
      - 2
      - 0
    .max_flat_workgroup_size: 512
    .name:           fft_rtc_back_len256_factors_8_4_8_wgs_512_tpt_32_dim3_dp_ip_CI_sbcc_twdbase8_2step_dirReg
    .private_segment_fixed_size: 0
    .sgpr_count:     28
    .sgpr_spill_count: 0
    .symbol:         fft_rtc_back_len256_factors_8_4_8_wgs_512_tpt_32_dim3_dp_ip_CI_sbcc_twdbase8_2step_dirReg.kd
    .uniform_work_group_size: 1
    .uses_dynamic_stack: false
    .vgpr_count:     109
    .vgpr_spill_count: 0
    .wavefront_size: 32
    .workgroup_processor_mode: 1
amdhsa.target:   amdgcn-amd-amdhsa--gfx1201
amdhsa.version:
  - 1
  - 2
...

	.end_amdgpu_metadata
